;; amdgpu-corpus repo=ROCm/rocFFT kind=compiled arch=gfx906 opt=O3
	.text
	.amdgcn_target "amdgcn-amd-amdhsa--gfx906"
	.amdhsa_code_object_version 6
	.protected	fft_rtc_back_len160_factors_16_10_wgs_256_tpt_16_halfLds_sp_ip_CI_sbrr_dirReg ; -- Begin function fft_rtc_back_len160_factors_16_10_wgs_256_tpt_16_halfLds_sp_ip_CI_sbrr_dirReg
	.globl	fft_rtc_back_len160_factors_16_10_wgs_256_tpt_16_halfLds_sp_ip_CI_sbrr_dirReg
	.p2align	8
	.type	fft_rtc_back_len160_factors_16_10_wgs_256_tpt_16_halfLds_sp_ip_CI_sbrr_dirReg,@function
fft_rtc_back_len160_factors_16_10_wgs_256_tpt_16_halfLds_sp_ip_CI_sbrr_dirReg: ; @fft_rtc_back_len160_factors_16_10_wgs_256_tpt_16_halfLds_sp_ip_CI_sbrr_dirReg
; %bb.0:
	s_load_dwordx2 s[14:15], s[4:5], 0x18
	s_load_dwordx4 s[8:11], s[4:5], 0x0
	s_load_dwordx2 s[12:13], s[4:5], 0x50
	v_lshrrev_b32_e32 v35, 4, v0
	v_mov_b32_e32 v3, 0
	s_waitcnt lgkmcnt(0)
	s_load_dwordx2 s[2:3], s[14:15], 0x0
	v_cmp_lt_u64_e64 s[0:1], s[10:11], 2
	v_mov_b32_e32 v1, 0
	v_lshl_or_b32 v5, s6, 4, v35
	v_mov_b32_e32 v6, v3
	s_and_b64 vcc, exec, s[0:1]
	v_mov_b32_e32 v2, 0
	s_cbranch_vccnz .LBB0_8
; %bb.1:
	s_load_dwordx2 s[0:1], s[4:5], 0x10
	s_add_u32 s6, s14, 8
	s_addc_u32 s7, s15, 0
	v_mov_b32_e32 v1, 0
	v_mov_b32_e32 v2, 0
	s_waitcnt lgkmcnt(0)
	s_add_u32 s16, s0, 8
	s_addc_u32 s17, s1, 0
	s_mov_b64 s[18:19], 1
.LBB0_2:                                ; =>This Inner Loop Header: Depth=1
	s_load_dwordx2 s[20:21], s[16:17], 0x0
                                        ; implicit-def: $vgpr7_vgpr8
	s_waitcnt lgkmcnt(0)
	v_or_b32_e32 v4, s21, v6
	v_cmp_ne_u64_e32 vcc, 0, v[3:4]
	s_and_saveexec_b64 s[0:1], vcc
	s_xor_b64 s[22:23], exec, s[0:1]
	s_cbranch_execz .LBB0_4
; %bb.3:                                ;   in Loop: Header=BB0_2 Depth=1
	v_cvt_f32_u32_e32 v4, s20
	v_cvt_f32_u32_e32 v7, s21
	s_sub_u32 s0, 0, s20
	s_subb_u32 s1, 0, s21
	v_mac_f32_e32 v4, 0x4f800000, v7
	v_rcp_f32_e32 v4, v4
	v_mul_f32_e32 v4, 0x5f7ffffc, v4
	v_mul_f32_e32 v7, 0x2f800000, v4
	v_trunc_f32_e32 v7, v7
	v_mac_f32_e32 v4, 0xcf800000, v7
	v_cvt_u32_f32_e32 v7, v7
	v_cvt_u32_f32_e32 v4, v4
	v_mul_lo_u32 v8, s0, v7
	v_mul_hi_u32 v9, s0, v4
	v_mul_lo_u32 v11, s1, v4
	v_mul_lo_u32 v10, s0, v4
	v_add_u32_e32 v8, v9, v8
	v_add_u32_e32 v8, v8, v11
	v_mul_hi_u32 v9, v4, v10
	v_mul_lo_u32 v11, v4, v8
	v_mul_hi_u32 v13, v4, v8
	v_mul_hi_u32 v12, v7, v10
	v_mul_lo_u32 v10, v7, v10
	v_mul_hi_u32 v14, v7, v8
	v_add_co_u32_e32 v9, vcc, v9, v11
	v_addc_co_u32_e32 v11, vcc, 0, v13, vcc
	v_mul_lo_u32 v8, v7, v8
	v_add_co_u32_e32 v9, vcc, v9, v10
	v_addc_co_u32_e32 v9, vcc, v11, v12, vcc
	v_addc_co_u32_e32 v10, vcc, 0, v14, vcc
	v_add_co_u32_e32 v8, vcc, v9, v8
	v_addc_co_u32_e32 v9, vcc, 0, v10, vcc
	v_add_co_u32_e32 v4, vcc, v4, v8
	v_addc_co_u32_e32 v7, vcc, v7, v9, vcc
	v_mul_lo_u32 v8, s0, v7
	v_mul_hi_u32 v9, s0, v4
	v_mul_lo_u32 v10, s1, v4
	v_mul_lo_u32 v11, s0, v4
	v_add_u32_e32 v8, v9, v8
	v_add_u32_e32 v8, v8, v10
	v_mul_lo_u32 v12, v4, v8
	v_mul_hi_u32 v13, v4, v11
	v_mul_hi_u32 v14, v4, v8
	;; [unrolled: 1-line block ×3, first 2 shown]
	v_mul_lo_u32 v11, v7, v11
	v_mul_hi_u32 v9, v7, v8
	v_add_co_u32_e32 v12, vcc, v13, v12
	v_addc_co_u32_e32 v13, vcc, 0, v14, vcc
	v_mul_lo_u32 v8, v7, v8
	v_add_co_u32_e32 v11, vcc, v12, v11
	v_addc_co_u32_e32 v10, vcc, v13, v10, vcc
	v_addc_co_u32_e32 v9, vcc, 0, v9, vcc
	v_add_co_u32_e32 v8, vcc, v10, v8
	v_addc_co_u32_e32 v9, vcc, 0, v9, vcc
	v_add_co_u32_e32 v4, vcc, v4, v8
	v_addc_co_u32_e32 v9, vcc, v7, v9, vcc
	v_mad_u64_u32 v[7:8], s[0:1], v5, v9, 0
	v_mul_hi_u32 v10, v5, v4
	v_add_co_u32_e32 v11, vcc, v10, v7
	v_addc_co_u32_e32 v12, vcc, 0, v8, vcc
	v_mad_u64_u32 v[7:8], s[0:1], v6, v4, 0
	v_mad_u64_u32 v[9:10], s[0:1], v6, v9, 0
	v_add_co_u32_e32 v4, vcc, v11, v7
	v_addc_co_u32_e32 v4, vcc, v12, v8, vcc
	v_addc_co_u32_e32 v7, vcc, 0, v10, vcc
	v_add_co_u32_e32 v4, vcc, v4, v9
	v_addc_co_u32_e32 v9, vcc, 0, v7, vcc
	v_mul_lo_u32 v10, s21, v4
	v_mul_lo_u32 v11, s20, v9
	v_mad_u64_u32 v[7:8], s[0:1], s20, v4, 0
	v_add3_u32 v8, v8, v11, v10
	v_sub_u32_e32 v10, v6, v8
	v_mov_b32_e32 v11, s21
	v_sub_co_u32_e32 v7, vcc, v5, v7
	v_subb_co_u32_e64 v10, s[0:1], v10, v11, vcc
	v_subrev_co_u32_e64 v11, s[0:1], s20, v7
	v_subbrev_co_u32_e64 v10, s[0:1], 0, v10, s[0:1]
	v_cmp_le_u32_e64 s[0:1], s21, v10
	v_cndmask_b32_e64 v12, 0, -1, s[0:1]
	v_cmp_le_u32_e64 s[0:1], s20, v11
	v_cndmask_b32_e64 v11, 0, -1, s[0:1]
	v_cmp_eq_u32_e64 s[0:1], s21, v10
	v_cndmask_b32_e64 v10, v12, v11, s[0:1]
	v_add_co_u32_e64 v11, s[0:1], 2, v4
	v_addc_co_u32_e64 v12, s[0:1], 0, v9, s[0:1]
	v_add_co_u32_e64 v13, s[0:1], 1, v4
	v_addc_co_u32_e64 v14, s[0:1], 0, v9, s[0:1]
	v_subb_co_u32_e32 v8, vcc, v6, v8, vcc
	v_cmp_ne_u32_e64 s[0:1], 0, v10
	v_cmp_le_u32_e32 vcc, s21, v8
	v_cndmask_b32_e64 v10, v14, v12, s[0:1]
	v_cndmask_b32_e64 v12, 0, -1, vcc
	v_cmp_le_u32_e32 vcc, s20, v7
	v_cndmask_b32_e64 v7, 0, -1, vcc
	v_cmp_eq_u32_e32 vcc, s21, v8
	v_cndmask_b32_e32 v7, v12, v7, vcc
	v_cmp_ne_u32_e32 vcc, 0, v7
	v_cndmask_b32_e64 v7, v13, v11, s[0:1]
	v_cndmask_b32_e32 v8, v9, v10, vcc
	v_cndmask_b32_e32 v7, v4, v7, vcc
.LBB0_4:                                ;   in Loop: Header=BB0_2 Depth=1
	s_andn2_saveexec_b64 s[0:1], s[22:23]
	s_cbranch_execz .LBB0_6
; %bb.5:                                ;   in Loop: Header=BB0_2 Depth=1
	v_cvt_f32_u32_e32 v4, s20
	s_sub_i32 s22, 0, s20
	v_rcp_iflag_f32_e32 v4, v4
	v_mul_f32_e32 v4, 0x4f7ffffe, v4
	v_cvt_u32_f32_e32 v4, v4
	v_mul_lo_u32 v7, s22, v4
	v_mul_hi_u32 v7, v4, v7
	v_add_u32_e32 v4, v4, v7
	v_mul_hi_u32 v4, v5, v4
	v_mul_lo_u32 v7, v4, s20
	v_add_u32_e32 v8, 1, v4
	v_sub_u32_e32 v7, v5, v7
	v_subrev_u32_e32 v9, s20, v7
	v_cmp_le_u32_e32 vcc, s20, v7
	v_cndmask_b32_e32 v7, v7, v9, vcc
	v_cndmask_b32_e32 v4, v4, v8, vcc
	v_add_u32_e32 v8, 1, v4
	v_cmp_le_u32_e32 vcc, s20, v7
	v_cndmask_b32_e32 v7, v4, v8, vcc
	v_mov_b32_e32 v8, v3
.LBB0_6:                                ;   in Loop: Header=BB0_2 Depth=1
	s_or_b64 exec, exec, s[0:1]
	v_mul_lo_u32 v4, v8, s20
	v_mul_lo_u32 v11, v7, s21
	v_mad_u64_u32 v[9:10], s[0:1], v7, s20, 0
	s_load_dwordx2 s[0:1], s[6:7], 0x0
	s_add_u32 s18, s18, 1
	v_add3_u32 v4, v10, v11, v4
	v_sub_co_u32_e32 v5, vcc, v5, v9
	v_subb_co_u32_e32 v4, vcc, v6, v4, vcc
	s_waitcnt lgkmcnt(0)
	v_mul_lo_u32 v4, s0, v4
	v_mul_lo_u32 v6, s1, v5
	v_mad_u64_u32 v[1:2], s[0:1], s0, v5, v[1:2]
	s_addc_u32 s19, s19, 0
	s_add_u32 s6, s6, 8
	v_add3_u32 v2, v6, v2, v4
	v_mov_b32_e32 v4, s10
	v_mov_b32_e32 v5, s11
	s_addc_u32 s7, s7, 0
	v_cmp_ge_u64_e32 vcc, s[18:19], v[4:5]
	s_add_u32 s16, s16, 8
	s_addc_u32 s17, s17, 0
	s_cbranch_vccnz .LBB0_9
; %bb.7:                                ;   in Loop: Header=BB0_2 Depth=1
	v_mov_b32_e32 v5, v7
	v_mov_b32_e32 v6, v8
	s_branch .LBB0_2
.LBB0_8:
	v_mov_b32_e32 v8, v6
	v_mov_b32_e32 v7, v5
.LBB0_9:
	s_lshl_b64 s[0:1], s[10:11], 3
	s_add_u32 s0, s14, s0
	s_addc_u32 s1, s15, s1
	s_load_dwordx2 s[6:7], s[0:1], 0x0
	s_load_dwordx2 s[10:11], s[4:5], 0x20
	v_and_b32_e32 v36, 15, v0
	v_mov_b32_e32 v4, 0
	v_mov_b32_e32 v0, 0
	s_waitcnt lgkmcnt(0)
	v_mul_lo_u32 v3, s6, v8
	v_mul_lo_u32 v5, s7, v7
	v_mad_u64_u32 v[1:2], s[0:1], s6, v7, v[1:2]
	v_cmp_gt_u64_e32 vcc, s[10:11], v[7:8]
	v_mov_b32_e32 v14, 0
	v_add3_u32 v2, v5, v2, v3
	v_mov_b32_e32 v3, 0
	v_mov_b32_e32 v13, 0
	;; [unrolled: 1-line block ×14, first 2 shown]
                                        ; implicit-def: $vgpr8
                                        ; implicit-def: $vgpr30
                                        ; implicit-def: $vgpr34
                                        ; implicit-def: $vgpr18
                                        ; implicit-def: $vgpr28
                                        ; implicit-def: $vgpr24
                                        ; implicit-def: $vgpr32
                                        ; implicit-def: $vgpr26
	s_and_saveexec_b64 s[4:5], vcc
	s_cbranch_execz .LBB0_13
; %bb.10:
	v_cmp_gt_u32_e64 s[0:1], 10, v36
	v_mov_b32_e32 v9, 0
	v_mov_b32_e32 v10, 0
	;; [unrolled: 1-line block ×16, first 2 shown]
                                        ; implicit-def: $vgpr25
                                        ; implicit-def: $vgpr31
                                        ; implicit-def: $vgpr23
                                        ; implicit-def: $vgpr27
                                        ; implicit-def: $vgpr17
                                        ; implicit-def: $vgpr33
                                        ; implicit-def: $vgpr29
                                        ; implicit-def: $vgpr7
	s_and_saveexec_b64 s[6:7], s[0:1]
	s_cbranch_execz .LBB0_12
; %bb.11:
	v_mad_u64_u32 v[3:4], s[0:1], s2, v36, 0
	v_add_u32_e32 v9, 10, v36
	v_mad_u64_u32 v[7:8], s[0:1], s2, v9, 0
	v_mov_b32_e32 v0, v4
	v_mad_u64_u32 v[4:5], s[0:1], s3, v36, v[0:1]
	v_lshlrev_b64 v[5:6], 3, v[1:2]
	v_mov_b32_e32 v0, s13
	v_add_co_u32_e64 v11, s[0:1], s12, v5
	v_addc_co_u32_e64 v12, s[0:1], v0, v6, s[0:1]
	v_mov_b32_e32 v0, v8
	v_mad_u64_u32 v[5:6], s[0:1], s3, v9, v[0:1]
	v_add_u32_e32 v6, 20, v36
	v_mad_u64_u32 v[9:10], s[0:1], s2, v6, 0
	v_lshlrev_b64 v[3:4], 3, v[3:4]
	v_mov_b32_e32 v8, v5
	v_add_co_u32_e64 v25, s[0:1], v11, v3
	v_mov_b32_e32 v0, v10
	v_addc_co_u32_e64 v26, s[0:1], v12, v4, s[0:1]
	v_lshlrev_b64 v[3:4], 3, v[7:8]
	v_mad_u64_u32 v[5:6], s[0:1], s3, v6, v[0:1]
	v_add_u32_e32 v8, 30, v36
	v_mad_u64_u32 v[6:7], s[0:1], s2, v8, 0
	v_add_co_u32_e64 v31, s[0:1], v11, v3
	v_mov_b32_e32 v0, v7
	v_addc_co_u32_e64 v32, s[0:1], v12, v4, s[0:1]
	v_mov_b32_e32 v10, v5
	v_mad_u64_u32 v[7:8], s[0:1], s3, v8, v[0:1]
	v_add_u32_e32 v5, 40, v36
	v_lshlrev_b64 v[3:4], 3, v[9:10]
	v_mad_u64_u32 v[8:9], s[0:1], s2, v5, 0
	v_add_co_u32_e64 v37, s[0:1], v11, v3
	v_mov_b32_e32 v0, v9
	v_addc_co_u32_e64 v38, s[0:1], v12, v4, s[0:1]
	v_lshlrev_b64 v[3:4], 3, v[6:7]
	v_mad_u64_u32 v[5:6], s[0:1], s3, v5, v[0:1]
	v_add_u32_e32 v10, 50, v36
	v_mad_u64_u32 v[6:7], s[0:1], s2, v10, 0
	v_add_co_u32_e64 v39, s[0:1], v11, v3
	v_mov_b32_e32 v9, v5
	v_mov_b32_e32 v0, v7
	v_addc_co_u32_e64 v40, s[0:1], v12, v4, s[0:1]
	v_lshlrev_b64 v[3:4], 3, v[8:9]
	v_mad_u64_u32 v[7:8], s[0:1], s3, v10, v[0:1]
	v_add_u32_e32 v5, 60, v36
	v_mad_u64_u32 v[8:9], s[0:1], s2, v5, 0
	v_add_co_u32_e64 v41, s[0:1], v11, v3
	v_mov_b32_e32 v0, v9
	v_addc_co_u32_e64 v42, s[0:1], v12, v4, s[0:1]
	v_lshlrev_b64 v[3:4], 3, v[6:7]
	v_mad_u64_u32 v[5:6], s[0:1], s3, v5, v[0:1]
	v_add_u32_e32 v10, 0x46, v36
	v_mad_u64_u32 v[6:7], s[0:1], s2, v10, 0
	v_add_co_u32_e64 v43, s[0:1], v11, v3
	v_mov_b32_e32 v9, v5
	v_mov_b32_e32 v0, v7
	v_addc_co_u32_e64 v44, s[0:1], v12, v4, s[0:1]
	v_lshlrev_b64 v[3:4], 3, v[8:9]
	v_mad_u64_u32 v[7:8], s[0:1], s3, v10, v[0:1]
	v_or_b32_e32 v5, 0x50, v36
	v_mad_u64_u32 v[8:9], s[0:1], s2, v5, 0
	v_add_co_u32_e64 v45, s[0:1], v11, v3
	v_mov_b32_e32 v0, v9
	v_addc_co_u32_e64 v46, s[0:1], v12, v4, s[0:1]
	v_lshlrev_b64 v[3:4], 3, v[6:7]
	v_mad_u64_u32 v[5:6], s[0:1], s3, v5, v[0:1]
	v_add_u32_e32 v10, 0x5a, v36
	v_mad_u64_u32 v[6:7], s[0:1], s2, v10, 0
	v_add_co_u32_e64 v47, s[0:1], v11, v3
	v_mov_b32_e32 v9, v5
	v_mov_b32_e32 v0, v7
	v_addc_co_u32_e64 v48, s[0:1], v12, v4, s[0:1]
	v_lshlrev_b64 v[3:4], 3, v[8:9]
	v_mad_u64_u32 v[7:8], s[0:1], s3, v10, v[0:1]
	v_add_u32_e32 v5, 0x64, v36
	v_mad_u64_u32 v[8:9], s[0:1], s2, v5, 0
	v_add_co_u32_e64 v49, s[0:1], v11, v3
	v_mov_b32_e32 v0, v9
	v_addc_co_u32_e64 v50, s[0:1], v12, v4, s[0:1]
	v_lshlrev_b64 v[3:4], 3, v[6:7]
	v_mad_u64_u32 v[5:6], s[0:1], s3, v5, v[0:1]
	v_add_u32_e32 v10, 0x6e, v36
	v_mad_u64_u32 v[6:7], s[0:1], s2, v10, 0
	v_add_co_u32_e64 v51, s[0:1], v11, v3
	v_mov_b32_e32 v9, v5
	v_mov_b32_e32 v0, v7
	v_addc_co_u32_e64 v52, s[0:1], v12, v4, s[0:1]
	v_lshlrev_b64 v[3:4], 3, v[8:9]
	v_mad_u64_u32 v[7:8], s[0:1], s3, v10, v[0:1]
	v_add_u32_e32 v5, 0x78, v36
	v_mad_u64_u32 v[8:9], s[0:1], s2, v5, 0
	v_add_co_u32_e64 v53, s[0:1], v11, v3
	v_mov_b32_e32 v0, v9
	v_addc_co_u32_e64 v54, s[0:1], v12, v4, s[0:1]
	v_lshlrev_b64 v[3:4], 3, v[6:7]
	v_mad_u64_u32 v[5:6], s[0:1], s3, v5, v[0:1]
	v_add_u32_e32 v10, 0x82, v36
	v_mad_u64_u32 v[6:7], s[0:1], s2, v10, 0
	v_add_co_u32_e64 v55, s[0:1], v11, v3
	v_mov_b32_e32 v9, v5
	v_mov_b32_e32 v0, v7
	v_addc_co_u32_e64 v56, s[0:1], v12, v4, s[0:1]
	v_lshlrev_b64 v[3:4], 3, v[8:9]
	v_mad_u64_u32 v[7:8], s[0:1], s3, v10, v[0:1]
	v_add_u32_e32 v5, 0x8c, v36
	v_mad_u64_u32 v[8:9], s[0:1], s2, v5, 0
	v_add_co_u32_e64 v57, s[0:1], v11, v3
	v_mov_b32_e32 v0, v9
	v_addc_co_u32_e64 v58, s[0:1], v12, v4, s[0:1]
	v_lshlrev_b64 v[3:4], 3, v[6:7]
	v_mad_u64_u32 v[5:6], s[0:1], s3, v5, v[0:1]
	v_add_u32_e32 v10, 0x96, v36
	v_mad_u64_u32 v[6:7], s[0:1], s2, v10, 0
	v_add_co_u32_e64 v59, s[0:1], v11, v3
	v_mov_b32_e32 v9, v5
	v_mov_b32_e32 v0, v7
	v_addc_co_u32_e64 v60, s[0:1], v12, v4, s[0:1]
	v_lshlrev_b64 v[3:4], 3, v[8:9]
	v_mad_u64_u32 v[7:8], s[0:1], s3, v10, v[0:1]
	v_add_co_u32_e64 v61, s[0:1], v11, v3
	v_addc_co_u32_e64 v62, s[0:1], v12, v4, s[0:1]
	v_lshlrev_b64 v[3:4], 3, v[6:7]
	v_add_co_u32_e64 v63, s[0:1], v11, v3
	v_addc_co_u32_e64 v64, s[0:1], v12, v4, s[0:1]
	global_load_dwordx2 v[3:4], v[25:26], off
	global_load_dwordx2 v[13:14], v[31:32], off
	;; [unrolled: 1-line block ×14, first 2 shown]
                                        ; kill: killed $vgpr53 killed $vgpr54
                                        ; kill: killed $vgpr43 killed $vgpr44
                                        ; kill: killed $vgpr25 killed $vgpr26
                                        ; kill: killed $vgpr57 killed $vgpr58
                                        ; kill: killed $vgpr47 killed $vgpr48
                                        ; kill: killed $vgpr37 killed $vgpr38
                                        ; kill: killed $vgpr51 killed $vgpr52
                                        ; kill: killed $vgpr41 killed $vgpr42
                                        ; kill: killed $vgpr55 killed $vgpr56
                                        ; kill: killed $vgpr45 killed $vgpr46
                                        ; kill: killed $vgpr31 killed $vgpr32
                                        ; kill: killed $vgpr59 killed $vgpr60
                                        ; kill: killed $vgpr49 killed $vgpr50
                                        ; kill: killed $vgpr39 killed $vgpr40
	global_load_dwordx2 v[31:32], v[61:62], off
	global_load_dwordx2 v[25:26], v[63:64], off
.LBB0_12:
	s_or_b64 exec, exec, s[6:7]
	v_mov_b32_e32 v0, v36
.LBB0_13:
	s_or_b64 exec, exec, s[4:5]
	s_waitcnt vmcnt(5)
	v_sub_f32_e32 v33, v19, v33
	v_sub_f32_e32 v34, v20, v34
	v_mul_u32_u24_e32 v44, 0xa0, v35
	v_fma_f32 v35, v19, 2.0, -v33
	v_fma_f32 v19, v20, 2.0, -v34
	s_waitcnt vmcnt(1)
	v_sub_f32_e32 v20, v21, v31
	v_sub_f32_e32 v31, v22, v32
	;; [unrolled: 1-line block ×5, first 2 shown]
	v_fma_f32 v13, v13, 2.0, -v29
	v_sub_f32_e32 v24, v16, v24
	v_fma_f32 v15, v15, 2.0, -v32
	v_fma_f32 v14, v14, 2.0, -v30
	;; [unrolled: 1-line block ×3, first 2 shown]
	s_waitcnt vmcnt(0)
	v_sub_f32_e32 v25, v9, v25
	v_sub_f32_e32 v15, v13, v15
	v_fma_f32 v21, v21, 2.0, -v20
	v_fma_f32 v22, v22, 2.0, -v31
	v_sub_f32_e32 v37, v11, v17
	v_sub_f32_e32 v18, v12, v18
	;; [unrolled: 1-line block ×3, first 2 shown]
	v_fma_f32 v38, v9, 2.0, -v25
	v_sub_f32_e32 v16, v14, v16
	v_fma_f32 v9, v13, 2.0, -v15
	v_add_f32_e32 v13, v29, v24
	v_fma_f32 v10, v10, 2.0, -v26
	v_sub_f32_e32 v17, v35, v21
	v_sub_f32_e32 v23, v19, v22
	v_add_f32_e32 v21, v33, v31
	v_sub_f32_e32 v22, v34, v20
	v_fma_f32 v20, v14, 2.0, -v16
	v_sub_f32_e32 v14, v30, v32
	v_fma_f32 v24, v29, 2.0, -v13
	v_add_f32_e32 v26, v37, v26
	v_sub_f32_e32 v40, v18, v25
	v_fma_f32 v12, v12, 2.0, -v18
	v_fma_f32 v31, v33, 2.0, -v21
	v_fma_f32 v33, v34, 2.0, -v22
	v_fma_f32 v34, v30, 2.0, -v14
	v_fma_f32 v25, v37, 2.0, -v26
	v_fma_f32 v39, v18, 2.0, -v40
	v_mov_b32_e32 v18, v24
	v_fma_f32 v11, v11, 2.0, -v37
	v_mul_f32_e32 v32, 0x3f3504f3, v31
	v_mul_f32_e32 v31, 0x3f3504f3, v22
	v_fmac_f32_e32 v18, 0xbf3504f3, v25
	v_mov_b32_e32 v22, v34
	v_sub_f32_e32 v38, v11, v38
	v_fmac_f32_e32 v22, 0xbf3504f3, v39
	v_fmac_f32_e32 v18, 0x3f3504f3, v39
	v_sub_f32_e32 v10, v12, v10
	v_fma_f32 v11, v11, 2.0, -v38
	v_mul_f32_e32 v37, 0x3f3504f3, v33
	v_fmac_f32_e32 v22, 0xbf3504f3, v25
	v_fma_f32 v33, v24, 2.0, -v18
	v_mov_b32_e32 v24, v13
	v_mov_b32_e32 v25, v14
	v_fma_f32 v12, v12, 2.0, -v10
	v_mul_f32_e32 v29, 0x3f3504f3, v21
	v_sub_f32_e32 v21, v9, v11
	v_add_f32_e32 v10, v15, v10
	v_sub_f32_e32 v11, v16, v38
	v_fmac_f32_e32 v24, 0x3f3504f3, v26
	v_fmac_f32_e32 v25, 0x3f3504f3, v40
	v_sub_f32_e32 v30, v20, v12
	v_fma_f32 v12, v15, 2.0, -v10
	v_fma_f32 v15, v16, 2.0, -v11
	v_fmac_f32_e32 v24, 0x3f3504f3, v40
	v_fmac_f32_e32 v25, 0xbf3504f3, v26
	v_sub_f32_e32 v27, v5, v27
	v_sub_f32_e32 v28, v6, v28
	v_fma_f32 v39, v34, 2.0, -v22
	v_fma_f32 v40, v13, 2.0, -v24
	;; [unrolled: 1-line block ×3, first 2 shown]
	v_mul_f32_e32 v42, 0x3f3504f3, v12
	v_mul_f32_e32 v43, 0x3f3504f3, v15
	;; [unrolled: 1-line block ×4, first 2 shown]
	v_cmp_gt_u32_e64 s[0:1], 10, v36
	v_lshlrev_b32_e32 v26, 2, v44
	s_and_saveexec_b64 s[4:5], s[0:1]
	s_cbranch_execz .LBB0_15
; %bb.14:
	v_sub_f32_e32 v7, v3, v7
	v_add_f32_e32 v10, v7, v28
	v_add_f32_e32 v11, v10, v29
	v_fma_f32 v3, v3, 2.0, -v7
	v_fma_f32 v5, v5, 2.0, -v27
	;; [unrolled: 1-line block ×3, first 2 shown]
	v_add_f32_e32 v16, v31, v11
	v_sub_f32_e32 v5, v3, v5
	v_sub_f32_e32 v11, v7, v32
	v_add_f32_e32 v48, v37, v11
	v_fma_f32 v3, v3, 2.0, -v5
	v_fma_f32 v11, v35, 2.0, -v17
	;; [unrolled: 1-line block ×3, first 2 shown]
	v_sub_f32_e32 v35, v3, v11
	v_mov_b32_e32 v11, v10
	v_add_f32_e32 v46, v5, v23
	v_fmac_f32_e32 v11, 0xbec3ef15, v40
	v_fmac_f32_e32 v11, 0x3f6c835e, v41
	v_fma_f32 v5, v5, 2.0, -v46
	v_fma_f32 v13, v10, 2.0, -v11
	v_sub_f32_e32 v10, v5, v42
	v_add_f32_e32 v10, v43, v10
	v_fma_f32 v12, v5, 2.0, -v10
	v_fma_f32 v5, v7, 2.0, -v48
	v_mov_b32_e32 v15, v5
	v_fmac_f32_e32 v15, 0xbf6c835e, v33
	v_fmac_f32_e32 v15, 0x3ec3ef15, v39
	v_fma_f32 v45, v5, 2.0, -v15
	v_fma_f32 v3, v3, 2.0, -v35
	;; [unrolled: 1-line block ×3, first 2 shown]
	v_sub_f32_e32 v14, v3, v5
	v_fma_f32 v44, v3, 2.0, -v14
	v_lshlrev_b32_e32 v3, 6, v36
	v_add3_u32 v3, 0, v3, v26
	ds_write2_b64 v3, v[44:45], v[12:13] offset1:1
	v_mov_b32_e32 v13, v16
	v_add_f32_e32 v5, v46, v34
	v_mov_b32_e32 v47, v48
	v_fmac_f32_e32 v13, 0x3f6c835e, v24
	v_add_f32_e32 v12, v38, v5
	v_fmac_f32_e32 v47, 0x3ec3ef15, v18
	v_fmac_f32_e32 v13, 0x3ec3ef15, v25
	v_fma_f32 v44, v46, 2.0, -v12
	v_fmac_f32_e32 v47, 0x3f6c835e, v22
	v_add_f32_e32 v46, v35, v30
	v_fma_f32 v45, v16, 2.0, -v13
	v_fma_f32 v49, v48, 2.0, -v47
	;; [unrolled: 1-line block ×3, first 2 shown]
	ds_write2_b64 v3, v[48:49], v[44:45] offset0:2 offset1:3
	ds_write2_b64 v3, v[14:15], v[10:11] offset0:4 offset1:5
	;; [unrolled: 1-line block ×3, first 2 shown]
.LBB0_15:
	s_or_b64 exec, exec, s[4:5]
	v_lshlrev_b32_e32 v3, 2, v36
	v_add_u32_e32 v44, 0, v3
	v_add_u32_e32 v35, v44, v26
	s_waitcnt lgkmcnt(0)
	s_barrier
	v_add3_u32 v7, 0, v26, v3
	ds_read2_b32 v[9:10], v35 offset0:16 offset1:32
	ds_read2_b32 v[15:16], v35 offset0:48 offset1:64
	;; [unrolled: 1-line block ×4, first 2 shown]
	ds_read_b32 v3, v7
	ds_read_b32 v5, v35 offset:576
	s_waitcnt lgkmcnt(0)
	s_barrier
	s_and_saveexec_b64 s[4:5], s[0:1]
	s_cbranch_execz .LBB0_17
; %bb.16:
	v_sub_f32_e32 v8, v4, v8
	v_fma_f32 v4, v4, 2.0, -v8
	v_fma_f32 v6, v6, 2.0, -v28
	v_sub_f32_e32 v6, v4, v6
	v_sub_f32_e32 v27, v8, v27
	;; [unrolled: 1-line block ×3, first 2 shown]
	v_add_f32_e32 v17, v27, v31
	v_fma_f32 v4, v4, 2.0, -v6
	v_fma_f32 v8, v8, 2.0, -v27
	;; [unrolled: 1-line block ×3, first 2 shown]
	v_sub_f32_e32 v46, v17, v29
	v_sub_f32_e32 v23, v4, v19
	;; [unrolled: 1-line block ×3, first 2 shown]
	v_fma_f32 v17, v27, 2.0, -v46
	v_fma_f32 v4, v4, 2.0, -v23
	v_sub_f32_e32 v37, v19, v32
	v_fma_f32 v19, v20, 2.0, -v30
	v_mov_b32_e32 v30, v17
	v_fma_f32 v8, v8, 2.0, -v37
	v_fma_f32 v6, v6, 2.0, -v45
	v_sub_f32_e32 v19, v4, v19
	v_fmac_f32_e32 v30, 0xbec3ef15, v41
	v_fma_f32 v27, v4, 2.0, -v19
	v_mov_b32_e32 v20, v8
	v_sub_f32_e32 v4, v6, v43
	v_fmac_f32_e32 v30, 0xbf6c835e, v40
	v_mov_b32_e32 v40, v37
	v_fmac_f32_e32 v20, 0xbf6c835e, v39
	v_sub_f32_e32 v29, v4, v42
	v_fmac_f32_e32 v40, 0x3ec3ef15, v22
	v_add_f32_e32 v4, v45, v38
	v_mov_b32_e32 v22, v46
	v_fmac_f32_e32 v20, 0xbec3ef15, v33
	v_sub_f32_e32 v39, v23, v21
	v_sub_f32_e32 v21, v4, v34
	v_fmac_f32_e32 v22, 0x3f6c835e, v25
	v_mul_u32_u24_e32 v4, 60, v36
	v_fma_f32 v28, v8, 2.0, -v20
	v_fma_f32 v31, v6, 2.0, -v29
	;; [unrolled: 1-line block ×3, first 2 shown]
	v_fmac_f32_e32 v40, 0xbf6c835e, v18
	v_fmac_f32_e32 v22, 0xbec3ef15, v24
	v_add3_u32 v4, v44, v4, v26
	v_fma_f32 v17, v23, 2.0, -v39
	v_fma_f32 v18, v37, 2.0, -v40
	;; [unrolled: 1-line block ×4, first 2 shown]
	ds_write2_b64 v4, v[27:28], v[31:32] offset1:1
	ds_write2_b64 v4, v[17:18], v[23:24] offset0:2 offset1:3
	ds_write2_b64 v4, v[19:20], v[29:30] offset0:4 offset1:5
	ds_write2_b64 v4, v[39:40], v[21:22] offset0:6 offset1:7
.LBB0_17:
	s_or_b64 exec, exec, s[4:5]
	s_waitcnt lgkmcnt(0)
	s_barrier
	s_and_saveexec_b64 s[0:1], vcc
	s_cbranch_execz .LBB0_19
; %bb.18:
	v_mul_u32_u24_e32 v4, 9, v36
	v_lshlrev_b32_e32 v4, 3, v4
	global_load_dwordx4 v[17:20], v4, s[8:9] offset:16
	global_load_dwordx4 v[21:24], v4, s[8:9]
	global_load_dwordx4 v[25:28], v4, s[8:9] offset:48
	global_load_dwordx4 v[29:32], v4, s[8:9] offset:32
	global_load_dwordx2 v[33:34], v4, s[8:9] offset:64
	ds_read2_b32 v[36:37], v35 offset0:16 offset1:32
	ds_read2_b32 v[38:39], v35 offset0:48 offset1:64
	;; [unrolled: 1-line block ×4, first 2 shown]
	ds_read_b32 v4, v7
	ds_read_b32 v6, v35 offset:576
	v_lshlrev_b64 v[1:2], 3, v[1:2]
	s_waitcnt vmcnt(4)
	v_mul_f32_e32 v35, v15, v17
	v_mul_f32_e32 v7, v16, v20
	s_waitcnt lgkmcnt(4)
	v_mul_f32_e32 v20, v39, v20
	v_mul_f32_e32 v8, v15, v18
	s_waitcnt vmcnt(3)
	v_mul_f32_e32 v15, v10, v24
	v_fmac_f32_e32 v35, v38, v18
	v_mul_f32_e32 v18, v37, v24
	s_waitcnt vmcnt(1) lgkmcnt(2)
	v_mul_f32_e32 v24, v43, v32
	v_fmac_f32_e32 v20, v16, v19
	v_fma_f32 v16, v39, v19, -v7
	v_fma_f32 v8, v38, v17, -v8
	v_mul_f32_e32 v7, v12, v28
	v_mul_f32_e32 v17, v14, v32
	;; [unrolled: 1-line block ×4, first 2 shown]
	v_fmac_f32_e32 v24, v14, v31
	v_mul_f32_e32 v13, v13, v30
	v_mul_f32_e32 v14, v11, v25
	;; [unrolled: 1-line block ×3, first 2 shown]
	s_waitcnt vmcnt(0)
	v_mul_f32_e32 v32, v5, v33
	v_mul_f32_e32 v5, v5, v34
	v_fmac_f32_e32 v19, v12, v27
	v_mul_f32_e32 v12, v9, v21
	v_fmac_f32_e32 v18, v10, v23
	v_mul_f32_e32 v9, v9, v22
	v_fma_f32 v10, v37, v23, -v15
	v_fma_f32 v15, v41, v27, -v7
	;; [unrolled: 1-line block ×3, first 2 shown]
	s_waitcnt lgkmcnt(0)
	v_fmac_f32_e32 v32, v6, v34
	v_fma_f32 v6, v6, v33, -v5
	v_fma_f32 v13, v42, v29, -v13
	;; [unrolled: 1-line block ×3, first 2 shown]
	v_fmac_f32_e32 v28, v42, v30
	v_fmac_f32_e32 v14, v40, v26
	v_fma_f32 v21, v36, v21, -v9
	v_add_f32_e32 v9, v16, v17
	v_sub_f32_e32 v31, v8, v13
	v_sub_f32_e32 v33, v6, v11
	v_add_f32_e32 v40, v10, v15
	v_fmac_f32_e32 v12, v36, v22
	v_sub_f32_e32 v5, v10, v16
	v_sub_f32_e32 v7, v15, v17
	;; [unrolled: 1-line block ×4, first 2 shown]
	v_add_f32_e32 v27, v28, v14
	v_sub_f32_e32 v38, v16, v10
	v_sub_f32_e32 v39, v17, v15
	v_fma_f32 v43, -0.5, v9, v4
	v_add_f32_e32 v9, v31, v33
	v_fma_f32 v31, -0.5, v40, v4
	v_sub_f32_e32 v23, v20, v24
	v_sub_f32_e32 v41, v28, v35
	;; [unrolled: 1-line block ×3, first 2 shown]
	v_add_f32_e32 v5, v5, v7
	v_add_f32_e32 v7, v25, v26
	v_fma_f32 v25, -0.5, v27, v12
	v_add_f32_e32 v27, v38, v39
	v_mov_b32_e32 v39, v31
	v_add_f32_e32 v40, v35, v32
	v_sub_f32_e32 v22, v18, v19
	v_add_f32_e32 v33, v41, v42
	v_fmac_f32_e32 v39, 0x3f737871, v23
	v_fma_f32 v40, -0.5, v40, v12
	v_sub_f32_e32 v41, v13, v8
	v_sub_f32_e32 v42, v11, v6
	v_fmac_f32_e32 v31, 0xbf737871, v23
	v_sub_f32_e32 v30, v13, v11
	v_fmac_f32_e32 v39, 0xbf167918, v22
	v_add_f32_e32 v41, v41, v42
	v_mov_b32_e32 v42, v40
	v_fmac_f32_e32 v31, 0x3f167918, v22
	v_sub_f32_e32 v29, v8, v6
	v_fmac_f32_e32 v39, 0x3e9e377a, v27
	v_fmac_f32_e32 v42, 0xbf737871, v30
	;; [unrolled: 1-line block ×3, first 2 shown]
	v_add_f32_e32 v27, v8, v6
	v_fmac_f32_e32 v40, 0x3f737871, v30
	v_fmac_f32_e32 v42, 0x3f167918, v29
	v_fma_f32 v27, -0.5, v27, v21
	v_fmac_f32_e32 v40, 0xbf167918, v29
	v_sub_f32_e32 v37, v28, v14
	v_fmac_f32_e32 v42, 0x3e9e377a, v33
	v_fmac_f32_e32 v40, 0x3e9e377a, v33
	v_mov_b32_e32 v33, v27
	v_add_f32_e32 v34, v13, v11
	v_sub_f32_e32 v36, v35, v32
	v_fmac_f32_e32 v33, 0x3f737871, v37
	v_fmac_f32_e32 v27, 0xbf737871, v37
	v_add_f32_e32 v8, v8, v21
	v_fma_f32 v26, -0.5, v34, v21
	v_mov_b32_e32 v38, v25
	v_fmac_f32_e32 v33, 0xbf167918, v36
	v_fmac_f32_e32 v27, 0x3f167918, v36
	v_add_f32_e32 v8, v13, v8
	v_fmac_f32_e32 v38, 0x3f737871, v29
	v_fmac_f32_e32 v33, 0x3e9e377a, v41
	;; [unrolled: 1-line block ×3, first 2 shown]
	v_mov_b32_e32 v41, v26
	v_fmac_f32_e32 v25, 0xbf737871, v29
	v_add_f32_e32 v8, v11, v8
	v_fmac_f32_e32 v38, 0x3f167918, v30
	v_fmac_f32_e32 v41, 0xbf737871, v36
	;; [unrolled: 1-line block ×3, first 2 shown]
	v_add_f32_e32 v30, v6, v8
	v_sub_f32_e32 v6, v18, v20
	v_sub_f32_e32 v8, v19, v24
	v_add_f32_e32 v4, v10, v4
	v_mov_b32_e32 v34, v43
	v_fmac_f32_e32 v41, 0xbf167918, v37
	v_fmac_f32_e32 v26, 0x3f737871, v36
	v_add_f32_e32 v36, v6, v8
	v_add_f32_e32 v4, v16, v4
	;; [unrolled: 1-line block ×3, first 2 shown]
	v_fmac_f32_e32 v34, 0xbf737871, v22
	v_fmac_f32_e32 v41, 0x3e9e377a, v9
	;; [unrolled: 1-line block ×3, first 2 shown]
	v_add_f32_e32 v4, v17, v4
	v_fma_f32 v44, -0.5, v6, v3
	v_sub_f32_e32 v6, v20, v18
	v_sub_f32_e32 v8, v24, v19
	v_fmac_f32_e32 v34, 0xbf167918, v23
	v_fmac_f32_e32 v38, 0x3e9e377a, v7
	v_mul_f32_e32 v22, 0xbf4f1bbd, v41
	v_fmac_f32_e32 v43, 0x3f167918, v23
	v_mul_f32_e32 v23, 0xbe9e377a, v33
	v_fmac_f32_e32 v26, 0x3f167918, v37
	v_add_f32_e32 v37, v15, v4
	v_sub_f32_e32 v4, v10, v15
	v_sub_f32_e32 v10, v16, v17
	v_mul_f32_e32 v16, 0xbf167918, v41
	v_add_f32_e32 v6, v6, v8
	v_add_f32_e32 v8, v18, v19
	v_mul_f32_e32 v33, 0xbf737871, v33
	v_fmac_f32_e32 v22, 0x3f167918, v38
	v_fmac_f32_e32 v23, 0x3f737871, v42
	;; [unrolled: 1-line block ×3, first 2 shown]
	v_fma_f32 v38, -0.5, v8, v3
	v_fmac_f32_e32 v33, 0xbe9e377a, v42
	v_mov_b32_e32 v42, v44
	v_add_f32_e32 v3, v3, v18
	v_fmac_f32_e32 v34, 0x3e9e377a, v5
	v_fmac_f32_e32 v42, 0x3f737871, v4
	;; [unrolled: 1-line block ×3, first 2 shown]
	v_add_f32_e32 v3, v3, v20
	v_fmac_f32_e32 v43, 0x3e9e377a, v5
	v_sub_f32_e32 v5, v34, v22
	v_fmac_f32_e32 v25, 0x3e9e377a, v7
	v_sub_f32_e32 v7, v39, v23
	v_fmac_f32_e32 v42, 0x3f167918, v10
	v_fmac_f32_e32 v44, 0xbf167918, v10
	v_add_f32_e32 v3, v3, v24
	v_add_f32_e32 v15, v34, v22
	;; [unrolled: 1-line block ×3, first 2 shown]
	v_mad_u64_u32 v[22:23], s[0:1], s2, v0, 0
	v_fmac_f32_e32 v42, 0x3e9e377a, v36
	v_fmac_f32_e32 v44, 0x3e9e377a, v36
	v_add_f32_e32 v36, v19, v3
	v_add_f32_e32 v3, v35, v12
	v_mov_b32_e32 v41, v38
	v_add_f32_e32 v3, v28, v3
	v_fmac_f32_e32 v41, 0xbf737871, v10
	v_fmac_f32_e32 v38, 0x3f737871, v10
	v_add_f32_e32 v3, v14, v3
	v_fmac_f32_e32 v26, 0x3e9e377a, v9
	v_fmac_f32_e32 v41, 0x3f167918, v4
	;; [unrolled: 1-line block ×3, first 2 shown]
	v_sub_f32_e32 v4, v42, v16
	v_add_f32_e32 v28, v32, v3
	v_mov_b32_e32 v3, v23
	v_mul_f32_e32 v29, 0x3e9e377a, v27
	v_mul_f32_e32 v21, 0x3f4f1bbd, v26
	;; [unrolled: 1-line block ×4, first 2 shown]
	v_mad_u64_u32 v[23:24], s[0:1], s3, v0, v[3:4]
	v_fmac_f32_e32 v38, 0x3e9e377a, v6
	v_fmac_f32_e32 v27, 0x3e9e377a, v40
	;; [unrolled: 1-line block ×3, first 2 shown]
	v_sub_f32_e32 v12, v36, v28
	v_add_f32_e32 v24, v36, v28
	v_or_b32_e32 v28, 16, v0
	v_sub_f32_e32 v8, v38, v27
	v_sub_f32_e32 v10, v44, v26
	v_add_f32_e32 v18, v38, v27
	v_add_f32_e32 v20, v44, v26
	v_mad_u64_u32 v[26:27], s[0:1], s2, v28, 0
	v_fmac_f32_e32 v29, 0x3f737871, v40
	v_sub_f32_e32 v9, v31, v29
	v_add_f32_e32 v19, v31, v29
	v_mov_b32_e32 v3, s13
	v_add_co_u32_e32 v29, vcc, s12, v1
	v_fmac_f32_e32 v21, 0x3f167918, v25
	v_sub_f32_e32 v13, v37, v30
	v_add_f32_e32 v25, v37, v30
	v_addc_co_u32_e32 v30, vcc, v3, v2, vcc
	v_lshlrev_b64 v[1:2], 3, v[22:23]
	v_mov_b32_e32 v3, v27
	v_mad_u64_u32 v[22:23], s[0:1], s3, v28, v[3:4]
	v_add_co_u32_e32 v1, vcc, v29, v1
	v_addc_co_u32_e32 v2, vcc, v30, v2, vcc
	global_store_dwordx2 v[1:2], v[24:25], off
	v_or_b32_e32 v24, 32, v0
	v_mov_b32_e32 v27, v22
	v_mad_u64_u32 v[22:23], s[0:1], s2, v24, 0
	v_lshlrev_b64 v[1:2], 3, v[26:27]
	v_or_b32_e32 v26, 48, v0
	v_mov_b32_e32 v3, v23
	v_mad_u64_u32 v[23:24], s[0:1], s3, v24, v[3:4]
	v_mad_u64_u32 v[24:25], s[0:1], s2, v26, 0
	v_add_co_u32_e32 v1, vcc, v29, v1
	v_sub_f32_e32 v11, v43, v21
	v_add_f32_e32 v21, v43, v21
	v_addc_co_u32_e32 v2, vcc, v30, v2, vcc
	v_mov_b32_e32 v3, v25
	global_store_dwordx2 v[1:2], v[20:21], off
	v_mad_u64_u32 v[20:21], s[0:1], s3, v26, v[3:4]
	v_lshlrev_b64 v[1:2], 3, v[22:23]
	v_or_b32_e32 v22, 0x50, v0
	v_add_co_u32_e32 v1, vcc, v29, v1
	v_addc_co_u32_e32 v2, vcc, v30, v2, vcc
	v_mov_b32_e32 v25, v20
	v_or_b32_e32 v20, 64, v0
	global_store_dwordx2 v[1:2], v[18:19], off
	v_mad_u64_u32 v[18:19], s[0:1], s2, v20, 0
	v_lshlrev_b64 v[1:2], 3, v[24:25]
	v_fmac_f32_e32 v41, 0x3e9e377a, v6
	v_mov_b32_e32 v3, v19
	v_mad_u64_u32 v[19:20], s[0:1], s3, v20, v[3:4]
	v_mad_u64_u32 v[20:21], s[0:1], s2, v22, 0
	v_add_co_u32_e32 v1, vcc, v29, v1
	v_add_f32_e32 v14, v42, v16
	v_add_f32_e32 v16, v41, v33
	v_addc_co_u32_e32 v2, vcc, v30, v2, vcc
	v_mov_b32_e32 v3, v21
	global_store_dwordx2 v[1:2], v[16:17], off
	v_mad_u64_u32 v[16:17], s[0:1], s3, v22, v[3:4]
	v_lshlrev_b64 v[1:2], 3, v[18:19]
	v_or_b32_e32 v18, 0x70, v0
	v_add_co_u32_e32 v1, vcc, v29, v1
	v_addc_co_u32_e32 v2, vcc, v30, v2, vcc
	v_mov_b32_e32 v21, v16
	v_or_b32_e32 v16, 0x60, v0
	global_store_dwordx2 v[1:2], v[14:15], off
	v_mad_u64_u32 v[14:15], s[0:1], s2, v16, 0
	v_lshlrev_b64 v[1:2], 3, v[20:21]
	v_sub_f32_e32 v6, v41, v33
	v_mov_b32_e32 v3, v15
	v_mad_u64_u32 v[15:16], s[0:1], s3, v16, v[3:4]
	v_mad_u64_u32 v[16:17], s[0:1], s2, v18, 0
	v_add_co_u32_e32 v1, vcc, v29, v1
	v_addc_co_u32_e32 v2, vcc, v30, v2, vcc
	v_mov_b32_e32 v3, v17
	global_store_dwordx2 v[1:2], v[12:13], off
	v_mad_u64_u32 v[12:13], s[0:1], s3, v18, v[3:4]
	v_lshlrev_b64 v[1:2], 3, v[14:15]
	v_add_co_u32_e32 v1, vcc, v29, v1
	v_addc_co_u32_e32 v2, vcc, v30, v2, vcc
	v_mov_b32_e32 v17, v12
	v_or_b32_e32 v12, 0x80, v0
	global_store_dwordx2 v[1:2], v[10:11], off
	v_mad_u64_u32 v[10:11], s[0:1], s2, v12, 0
	v_lshlrev_b64 v[1:2], 3, v[16:17]
	v_mov_b32_e32 v3, v11
	v_mad_u64_u32 v[11:12], s[0:1], s3, v12, v[3:4]
	v_or_b32_e32 v3, 0x90, v0
	v_mad_u64_u32 v[12:13], s[0:1], s2, v3, 0
	v_add_co_u32_e32 v1, vcc, v29, v1
	v_addc_co_u32_e32 v2, vcc, v30, v2, vcc
	global_store_dwordx2 v[1:2], v[8:9], off
	v_mov_b32_e32 v2, v13
	v_mad_u64_u32 v[2:3], s[0:1], s3, v3, v[2:3]
	v_lshlrev_b64 v[0:1], 3, v[10:11]
	v_add_co_u32_e32 v0, vcc, v29, v0
	v_addc_co_u32_e32 v1, vcc, v30, v1, vcc
	v_mov_b32_e32 v13, v2
	global_store_dwordx2 v[0:1], v[6:7], off
	v_lshlrev_b64 v[0:1], 3, v[12:13]
	v_add_co_u32_e32 v0, vcc, v29, v0
	v_addc_co_u32_e32 v1, vcc, v30, v1, vcc
	global_store_dwordx2 v[0:1], v[4:5], off
.LBB0_19:
	s_endpgm
	.section	.rodata,"a",@progbits
	.p2align	6, 0x0
	.amdhsa_kernel fft_rtc_back_len160_factors_16_10_wgs_256_tpt_16_halfLds_sp_ip_CI_sbrr_dirReg
		.amdhsa_group_segment_fixed_size 0
		.amdhsa_private_segment_fixed_size 0
		.amdhsa_kernarg_size 88
		.amdhsa_user_sgpr_count 6
		.amdhsa_user_sgpr_private_segment_buffer 1
		.amdhsa_user_sgpr_dispatch_ptr 0
		.amdhsa_user_sgpr_queue_ptr 0
		.amdhsa_user_sgpr_kernarg_segment_ptr 1
		.amdhsa_user_sgpr_dispatch_id 0
		.amdhsa_user_sgpr_flat_scratch_init 0
		.amdhsa_user_sgpr_private_segment_size 0
		.amdhsa_uses_dynamic_stack 0
		.amdhsa_system_sgpr_private_segment_wavefront_offset 0
		.amdhsa_system_sgpr_workgroup_id_x 1
		.amdhsa_system_sgpr_workgroup_id_y 0
		.amdhsa_system_sgpr_workgroup_id_z 0
		.amdhsa_system_sgpr_workgroup_info 0
		.amdhsa_system_vgpr_workitem_id 0
		.amdhsa_next_free_vgpr 65
		.amdhsa_next_free_sgpr 24
		.amdhsa_reserve_vcc 1
		.amdhsa_reserve_flat_scratch 0
		.amdhsa_float_round_mode_32 0
		.amdhsa_float_round_mode_16_64 0
		.amdhsa_float_denorm_mode_32 3
		.amdhsa_float_denorm_mode_16_64 3
		.amdhsa_dx10_clamp 1
		.amdhsa_ieee_mode 1
		.amdhsa_fp16_overflow 0
		.amdhsa_exception_fp_ieee_invalid_op 0
		.amdhsa_exception_fp_denorm_src 0
		.amdhsa_exception_fp_ieee_div_zero 0
		.amdhsa_exception_fp_ieee_overflow 0
		.amdhsa_exception_fp_ieee_underflow 0
		.amdhsa_exception_fp_ieee_inexact 0
		.amdhsa_exception_int_div_zero 0
	.end_amdhsa_kernel
	.text
.Lfunc_end0:
	.size	fft_rtc_back_len160_factors_16_10_wgs_256_tpt_16_halfLds_sp_ip_CI_sbrr_dirReg, .Lfunc_end0-fft_rtc_back_len160_factors_16_10_wgs_256_tpt_16_halfLds_sp_ip_CI_sbrr_dirReg
                                        ; -- End function
	.section	.AMDGPU.csdata,"",@progbits
; Kernel info:
; codeLenInByte = 5296
; NumSgprs: 28
; NumVgprs: 65
; ScratchSize: 0
; MemoryBound: 0
; FloatMode: 240
; IeeeMode: 1
; LDSByteSize: 0 bytes/workgroup (compile time only)
; SGPRBlocks: 3
; VGPRBlocks: 16
; NumSGPRsForWavesPerEU: 28
; NumVGPRsForWavesPerEU: 65
; Occupancy: 3
; WaveLimiterHint : 1
; COMPUTE_PGM_RSRC2:SCRATCH_EN: 0
; COMPUTE_PGM_RSRC2:USER_SGPR: 6
; COMPUTE_PGM_RSRC2:TRAP_HANDLER: 0
; COMPUTE_PGM_RSRC2:TGID_X_EN: 1
; COMPUTE_PGM_RSRC2:TGID_Y_EN: 0
; COMPUTE_PGM_RSRC2:TGID_Z_EN: 0
; COMPUTE_PGM_RSRC2:TIDIG_COMP_CNT: 0
	.type	__hip_cuid_e42db87887615b,@object ; @__hip_cuid_e42db87887615b
	.section	.bss,"aw",@nobits
	.globl	__hip_cuid_e42db87887615b
__hip_cuid_e42db87887615b:
	.byte	0                               ; 0x0
	.size	__hip_cuid_e42db87887615b, 1

	.ident	"AMD clang version 19.0.0git (https://github.com/RadeonOpenCompute/llvm-project roc-6.4.0 25133 c7fe45cf4b819c5991fe208aaa96edf142730f1d)"
	.section	".note.GNU-stack","",@progbits
	.addrsig
	.addrsig_sym __hip_cuid_e42db87887615b
	.amdgpu_metadata
---
amdhsa.kernels:
  - .args:
      - .actual_access:  read_only
        .address_space:  global
        .offset:         0
        .size:           8
        .value_kind:     global_buffer
      - .offset:         8
        .size:           8
        .value_kind:     by_value
      - .actual_access:  read_only
        .address_space:  global
        .offset:         16
        .size:           8
        .value_kind:     global_buffer
      - .actual_access:  read_only
        .address_space:  global
        .offset:         24
        .size:           8
        .value_kind:     global_buffer
      - .offset:         32
        .size:           8
        .value_kind:     by_value
      - .actual_access:  read_only
        .address_space:  global
        .offset:         40
        .size:           8
        .value_kind:     global_buffer
      - .actual_access:  read_only
        .address_space:  global
        .offset:         48
        .size:           8
        .value_kind:     global_buffer
      - .offset:         56
        .size:           4
        .value_kind:     by_value
      - .actual_access:  read_only
        .address_space:  global
        .offset:         64
        .size:           8
        .value_kind:     global_buffer
      - .actual_access:  read_only
        .address_space:  global
        .offset:         72
        .size:           8
        .value_kind:     global_buffer
      - .address_space:  global
        .offset:         80
        .size:           8
        .value_kind:     global_buffer
    .group_segment_fixed_size: 0
    .kernarg_segment_align: 8
    .kernarg_segment_size: 88
    .language:       OpenCL C
    .language_version:
      - 2
      - 0
    .max_flat_workgroup_size: 256
    .name:           fft_rtc_back_len160_factors_16_10_wgs_256_tpt_16_halfLds_sp_ip_CI_sbrr_dirReg
    .private_segment_fixed_size: 0
    .sgpr_count:     28
    .sgpr_spill_count: 0
    .symbol:         fft_rtc_back_len160_factors_16_10_wgs_256_tpt_16_halfLds_sp_ip_CI_sbrr_dirReg.kd
    .uniform_work_group_size: 1
    .uses_dynamic_stack: false
    .vgpr_count:     65
    .vgpr_spill_count: 0
    .wavefront_size: 64
amdhsa.target:   amdgcn-amd-amdhsa--gfx906
amdhsa.version:
  - 1
  - 2
...

	.end_amdgpu_metadata
